;; amdgpu-corpus repo=ROCm/rocFFT kind=compiled arch=gfx906 opt=O3
	.text
	.amdgcn_target "amdgcn-amd-amdhsa--gfx906"
	.amdhsa_code_object_version 6
	.protected	fft_rtc_back_len108_factors_9_2_6_wgs_252_tpt_12_dim3_sp_ip_CI_sbcc_twdbase8_2step_dirReg_intrinsicReadWrite ; -- Begin function fft_rtc_back_len108_factors_9_2_6_wgs_252_tpt_12_dim3_sp_ip_CI_sbcc_twdbase8_2step_dirReg_intrinsicReadWrite
	.globl	fft_rtc_back_len108_factors_9_2_6_wgs_252_tpt_12_dim3_sp_ip_CI_sbcc_twdbase8_2step_dirReg_intrinsicReadWrite
	.p2align	8
	.type	fft_rtc_back_len108_factors_9_2_6_wgs_252_tpt_12_dim3_sp_ip_CI_sbcc_twdbase8_2step_dirReg_intrinsicReadWrite,@function
fft_rtc_back_len108_factors_9_2_6_wgs_252_tpt_12_dim3_sp_ip_CI_sbcc_twdbase8_2step_dirReg_intrinsicReadWrite: ; @fft_rtc_back_len108_factors_9_2_6_wgs_252_tpt_12_dim3_sp_ip_CI_sbcc_twdbase8_2step_dirReg_intrinsicReadWrite
; %bb.0:
	s_load_dwordx4 s[0:3], s[4:5], 0x10
	s_mov_b32 s7, 0
	s_mov_b64 s[20:21], 0
	s_waitcnt lgkmcnt(0)
	s_load_dwordx2 s[10:11], s[0:1], 0x8
	s_waitcnt lgkmcnt(0)
	s_add_u32 s8, s10, -1
	s_addc_u32 s9, s11, -1
	s_add_u32 s12, 0, 0x30c26c00
	s_addc_u32 s13, 0, 44
	s_mul_hi_u32 s15, s12, 0xffffffeb
	s_add_i32 s13, s13, 0xc30c2e0
	s_sub_i32 s15, s15, s12
	s_mul_i32 s18, s13, 0xffffffeb
	s_mul_i32 s14, s12, 0xffffffeb
	s_add_i32 s15, s15, s18
	s_mul_hi_u32 s16, s13, s14
	s_mul_i32 s17, s13, s14
	s_mul_i32 s19, s12, s15
	s_mul_hi_u32 s14, s12, s14
	s_mul_hi_u32 s18, s12, s15
	s_add_u32 s14, s14, s19
	s_addc_u32 s18, 0, s18
	s_add_u32 s14, s14, s17
	s_mul_hi_u32 s19, s13, s15
	s_addc_u32 s14, s18, s16
	s_addc_u32 s16, s19, 0
	s_mul_i32 s15, s13, s15
	s_add_u32 s14, s14, s15
	v_mov_b32_e32 v1, s14
	s_addc_u32 s15, 0, s16
	v_add_co_u32_e32 v1, vcc, s12, v1
	s_cmp_lg_u64 vcc, 0
	s_addc_u32 s12, s13, s15
	v_readfirstlane_b32 s15, v1
	s_mul_i32 s14, s8, s12
	s_mul_hi_u32 s16, s8, s15
	s_mul_hi_u32 s13, s8, s12
	s_add_u32 s14, s16, s14
	s_addc_u32 s13, 0, s13
	s_mul_hi_u32 s17, s9, s15
	s_mul_i32 s15, s9, s15
	s_add_u32 s14, s14, s15
	s_mul_hi_u32 s16, s9, s12
	s_addc_u32 s13, s13, s17
	s_addc_u32 s14, s16, 0
	s_mul_i32 s12, s9, s12
	s_add_u32 s12, s13, s12
	s_addc_u32 s13, 0, s14
	s_add_u32 s14, s12, 1
	s_addc_u32 s15, s13, 0
	s_add_u32 s16, s12, 2
	s_mul_i32 s18, s13, 21
	s_mul_hi_u32 s19, s12, 21
	s_addc_u32 s17, s13, 0
	s_add_i32 s19, s19, s18
	s_mul_i32 s18, s12, 21
	v_mov_b32_e32 v1, s18
	v_sub_co_u32_e32 v1, vcc, s8, v1
	s_cmp_lg_u64 vcc, 0
	s_subb_u32 s8, s9, s19
	v_subrev_co_u32_e32 v2, vcc, 21, v1
	s_cmp_lg_u64 vcc, 0
	s_subb_u32 s9, s8, 0
	v_readfirstlane_b32 s18, v2
	s_cmp_gt_u32 s18, 20
	s_cselect_b32 s18, -1, 0
	s_cmp_eq_u32 s9, 0
	s_cselect_b32 s9, s18, -1
	s_cmp_lg_u32 s9, 0
	s_cselect_b32 s9, s16, s14
	s_cselect_b32 s14, s17, s15
	v_readfirstlane_b32 s15, v1
	s_cmp_gt_u32 s15, 20
	s_cselect_b32 s15, -1, 0
	s_cmp_eq_u32 s8, 0
	s_cselect_b32 s8, s15, -1
	s_cmp_lg_u32 s8, 0
	s_cselect_b32 s9, s9, s12
	s_cselect_b32 s8, s14, s13
	s_add_u32 s18, s9, 1
	s_addc_u32 s19, s8, 0
	v_mov_b32_e32 v1, s18
	v_mov_b32_e32 v2, s19
	v_cmp_lt_u64_e32 vcc, s[6:7], v[1:2]
	s_cbranch_vccnz .LBB0_2
; %bb.1:
	v_cvt_f32_u32_e32 v1, s18
	s_sub_i32 s8, 0, s18
	s_mov_b32 s21, s7
	v_rcp_iflag_f32_e32 v1, v1
	v_mul_f32_e32 v1, 0x4f7ffffe, v1
	v_cvt_u32_f32_e32 v1, v1
	v_readfirstlane_b32 s9, v1
	s_mul_i32 s8, s8, s9
	s_mul_hi_u32 s8, s9, s8
	s_add_i32 s9, s9, s8
	s_mul_hi_u32 s8, s6, s9
	s_mul_i32 s12, s8, s18
	s_sub_i32 s12, s6, s12
	s_add_i32 s9, s8, 1
	s_sub_i32 s13, s12, s18
	s_cmp_ge_u32 s12, s18
	s_cselect_b32 s8, s9, s8
	s_cselect_b32 s12, s13, s12
	s_add_i32 s9, s8, 1
	s_cmp_ge_u32 s12, s18
	s_cselect_b32 s20, s9, s8
.LBB0_2:
	s_load_dwordx2 s[22:23], s[0:1], 0x10
	s_load_dwordx2 s[8:9], s[4:5], 0x50
	s_load_dwordx4 s[12:15], s[2:3], 0x0
	s_mov_b64 s[0:1], s[20:21]
	s_waitcnt lgkmcnt(0)
	v_mov_b32_e32 v1, s22
	v_mov_b32_e32 v2, s23
	v_cmp_lt_u64_e32 vcc, s[20:21], v[1:2]
	s_cbranch_vccnz .LBB0_4
; %bb.3:
	v_cvt_f32_u32_e32 v1, s22
	s_sub_i32 s0, 0, s22
	v_rcp_iflag_f32_e32 v1, v1
	v_mul_f32_e32 v1, 0x4f7ffffe, v1
	v_cvt_u32_f32_e32 v1, v1
	v_readfirstlane_b32 s1, v1
	s_mul_i32 s0, s0, s1
	s_mul_hi_u32 s0, s1, s0
	s_add_i32 s1, s1, s0
	s_mul_hi_u32 s0, s20, s1
	s_mul_i32 s0, s0, s22
	s_sub_i32 s0, s20, s0
	s_sub_i32 s1, s0, s22
	s_cmp_ge_u32 s0, s22
	s_cselect_b32 s0, s1, s0
	s_sub_i32 s1, s0, s22
	s_cmp_ge_u32 s0, s22
	s_cselect_b32 s0, s1, s0
.LBB0_4:
	s_mul_i32 s1, s22, s19
	s_mul_hi_u32 s13, s22, s18
	s_add_i32 s1, s13, s1
	s_mul_i32 s13, s23, s18
	s_mul_i32 s24, s22, s18
	s_load_dwordx2 s[16:17], s[4:5], 0x0
	s_add_i32 s25, s1, s13
	s_load_dwordx2 s[22:23], s[2:3], 0x10
	v_mov_b32_e32 v1, s24
	v_mov_b32_e32 v2, s25
	v_cmp_lt_u64_e32 vcc, s[6:7], v[1:2]
	s_mov_b64 s[26:27], 0
	s_cbranch_vccnz .LBB0_6
; %bb.5:
	v_cvt_f32_u32_e32 v1, s24
	s_sub_i32 s1, 0, s24
	v_rcp_iflag_f32_e32 v1, v1
	v_mul_f32_e32 v1, 0x4f7ffffe, v1
	v_cvt_u32_f32_e32 v1, v1
	v_readfirstlane_b32 s7, v1
	s_mul_i32 s1, s1, s7
	s_mul_hi_u32 s1, s7, s1
	s_add_i32 s7, s7, s1
	s_mul_hi_u32 s1, s6, s7
	s_mul_i32 s13, s1, s24
	s_sub_i32 s13, s6, s13
	s_add_i32 s7, s1, 1
	s_sub_i32 s15, s13, s24
	s_cmp_ge_u32 s13, s24
	s_cselect_b32 s1, s7, s1
	s_cselect_b32 s13, s15, s13
	s_add_i32 s7, s1, 1
	s_cmp_ge_u32 s13, s24
	s_cselect_b32 s26, s7, s1
.LBB0_6:
	s_mul_i32 s1, s20, s19
	s_mul_hi_u32 s7, s20, s18
	s_load_dword s2, s[2:3], 0x18
	s_add_i32 s7, s7, s1
	s_mul_i32 s1, s20, s18
	s_sub_u32 s1, s6, s1
	v_mul_u32_u24_e32 v1, 0xc31, v0
	s_subb_u32 s6, 0, s7
	s_mul_hi_u32 s7, s1, 21
	s_mul_i32 s1, s1, 21
	v_lshrrev_b32_e32 v28, 16, v1
	s_mul_i32 s6, s6, 21
	s_mul_i32 s3, s14, s1
	s_waitcnt lgkmcnt(0)
	s_mul_i32 s0, s22, s0
	v_mul_lo_u16_e32 v1, 21, v28
	s_add_i32 s6, s7, s6
	s_add_i32 s0, s0, s3
	s_mul_i32 s2, s2, s26
	v_sub_u16_e32 v22, v0, v1
	s_add_i32 s7, s2, s0
	v_mov_b32_e32 v1, s6
	v_add_co_u32_e32 v15, vcc, s1, v22
	v_add_u32_e32 v27, 24, v28
	v_addc_co_u32_e32 v16, vcc, 0, v1, vcc
	s_add_u32 s0, s1, 21
	v_mad_u64_u32 v[13:14], s[2:3], s14, v22, 0
	v_mov_b32_e32 v1, s10
	v_mul_lo_u32 v3, s12, v27
	s_addc_u32 s1, s6, 0
	v_mov_b32_e32 v2, s11
	v_cmp_le_u64_e64 s[0:1], s[0:1], v[1:2]
	v_cmp_gt_u64_e32 vcc, s[10:11], v[15:16]
	v_add_u32_e32 v14, 12, v28
	v_mul_lo_u32 v1, s12, v14
	v_or_b32_e32 v2, 0x60, v28
	s_or_b64 s[2:3], s[0:1], vcc
	v_add_u32_e32 v25, 36, v28
	v_add_lshl_u32 v3, v13, v3, 3
	v_mul_lo_u32 v2, s12, v2
	v_mul_lo_u32 v4, s12, v25
	v_cndmask_b32_e64 v10, -1, v3, s[2:3]
	v_add_u32_e32 v3, 0x54, v28
	v_mul_lo_u32 v12, s12, v3
	v_add_u32_e32 v3, 0x48, v28
	v_mul_lo_u32 v16, s12, v3
	v_add_lshl_u32 v1, v13, v1, 3
	v_cndmask_b32_e64 v9, -1, v1, s[2:3]
	v_add_lshl_u32 v1, v13, v2, 3
	v_add_lshl_u32 v4, v13, v4, 3
	s_lshl_b32 s13, s7, 3
	s_mov_b32 s11, 0x20000
	s_mov_b32 s10, -2
	v_cndmask_b32_e64 v1, -1, v1, s[2:3]
	v_cndmask_b32_e64 v11, -1, v4, s[2:3]
	v_or_b32_e32 v26, 48, v28
	buffer_load_dwordx2 v[1:2], v1, s[8:11], s13 offen
	s_nop 0
	buffer_load_dwordx2 v[3:4], v9, s[8:11], s13 offen
	buffer_load_dwordx2 v[5:6], v10, s[8:11], s13 offen
	;; [unrolled: 1-line block ×3, first 2 shown]
	v_add_lshl_u32 v11, v13, v16, 3
	v_mul_lo_u32 v16, s12, v26
	v_add_u32_e32 v17, 60, v28
	v_add_lshl_u32 v9, v13, v12, 3
	v_mul_lo_u32 v18, s12, v17
	v_cndmask_b32_e64 v9, -1, v9, s[2:3]
	v_mul_lo_u32 v20, s12, v28
	buffer_load_dwordx2 v[9:10], v9, s[8:11], s13 offen
	v_cndmask_b32_e64 v11, -1, v11, s[2:3]
	buffer_load_dwordx2 v[11:12], v11, s[8:11], s13 offen
	v_add_lshl_u32 v16, v13, v16, 3
	v_cndmask_b32_e64 v16, -1, v16, s[2:3]
	buffer_load_dwordx2 v[16:17], v16, s[8:11], s13 offen
	v_add_lshl_u32 v18, v13, v18, 3
	;; [unrolled: 3-line block ×3, first 2 shown]
	v_cndmask_b32_e64 v20, -1, v20, s[2:3]
	buffer_load_dwordx2 v[20:21], v20, s[8:11], s13 offen
	s_mov_b32 s6, 0xbf248dbb
	v_lshlrev_b32_e32 v24, 3, v22
	s_waitcnt vmcnt(7)
	v_add_f32_e32 v29, v4, v2
	v_add_f32_e32 v23, v3, v1
	v_sub_f32_e32 v31, v4, v2
	v_sub_f32_e32 v30, v3, v1
	s_waitcnt vmcnt(4)
	v_add_f32_e32 v33, v6, v10
	v_add_f32_e32 v32, v5, v9
	s_waitcnt vmcnt(3)
	v_add_f32_e32 v35, v8, v12
	v_add_f32_e32 v37, v33, v29
	v_add_f32_e32 v34, v7, v11
	v_add_f32_e32 v36, v32, v23
	v_add_f32_e32 v2, v35, v37
	v_add_f32_e32 v1, v34, v36
	s_waitcnt vmcnt(2)
	v_add_f32_e32 v2, v17, v2
	v_add_f32_e32 v1, v16, v1
	s_waitcnt vmcnt(1)
	v_sub_f32_e32 v38, v16, v18
	v_add_f32_e32 v2, v19, v2
	v_sub_f32_e32 v9, v5, v9
	v_sub_f32_e32 v39, v17, v19
	v_add_f32_e32 v41, v17, v19
	v_add_f32_e32 v1, v18, v1
	s_waitcnt vmcnt(0)
	v_add_f32_e32 v2, v2, v21
	v_add_f32_e32 v4, v35, v21
	v_mul_f32_e32 v5, 0x3f7c1c5c, v38
	v_mov_b32_e32 v19, v21
	v_mov_b32_e32 v42, v21
	v_fmac_f32_e32 v21, 0x3f441b7d, v33
	v_sub_f32_e32 v10, v6, v10
	v_sub_f32_e32 v11, v7, v11
	v_add_f32_e32 v40, v16, v18
	v_add_f32_e32 v1, v1, v20
	;; [unrolled: 1-line block ×3, first 2 shown]
	v_fma_f32 v16, v9, s6, -v5
	v_mul_f32_e32 v5, 0x3f7c1c5c, v39
	v_mov_b32_e32 v17, v20
	v_mov_b32_e32 v18, v20
	v_fmac_f32_e32 v20, 0x3f441b7d, v32
	v_fmac_f32_e32 v21, 0x3e31d0d4, v41
	v_sub_f32_e32 v12, v8, v12
	v_fma_f32 v7, v10, s6, -v5
	v_fmac_f32_e32 v16, 0x3f5db3d7, v11
	v_fmac_f32_e32 v20, 0x3e31d0d4, v40
	v_fmac_f32_e32 v21, -0.5, v35
	v_fmac_f32_e32 v7, 0x3f5db3d7, v12
	v_fmac_f32_e32 v16, 0x3eaf1d44, v30
	v_fmac_f32_e32 v20, -0.5, v34
	v_fmac_f32_e32 v21, 0xbf708fb2, v29
	v_fmac_f32_e32 v7, 0x3eaf1d44, v31
	;; [unrolled: 1-line block ×3, first 2 shown]
	v_add_f32_e32 v6, v16, v21
	s_movk_i32 s6, 0x5e8
	v_sub_f32_e32 v5, v20, v7
	v_mov_b32_e32 v8, v6
	v_mad_u32_u24 v20, v28, s6, 0
	v_fma_f32 v7, 2.0, v7, v5
	v_fmac_f32_e32 v8, -2.0, v16
	v_add_u32_e32 v21, v20, v24
	ds_write2_b64 v21, v[5:6], v[7:8] offset0:84 offset1:105
	v_mul_f32_e32 v7, 0x3f248dbb, v30
	v_mul_f32_e32 v8, 0x3f248dbb, v31
	v_fmac_f32_e32 v17, 0x3f441b7d, v23
	v_fmac_f32_e32 v19, 0x3f441b7d, v29
	;; [unrolled: 1-line block ×8, first 2 shown]
	v_fmac_f32_e32 v17, -0.5, v34
	v_fmac_f32_e32 v19, -0.5, v35
	v_fmac_f32_e32 v7, 0x3eaf1d44, v38
	v_fmac_f32_e32 v8, 0x3eaf1d44, v39
	;; [unrolled: 1-line block ×4, first 2 shown]
	v_sub_f32_e32 v5, v17, v8
	v_add_f32_e32 v6, v7, v19
	ds_write2_b64 v21, v[1:2], v[5:6] offset1:21
	v_fma_f32 v16, 2.0, v8, v5
	v_fma_f32 v17, -2.0, v7, v6
	v_mul_f32_e32 v6, 0xbf248dbb, v38
	v_mul_f32_e32 v5, 0xbf248dbb, v39
	v_fmac_f32_e32 v6, 0x3f7c1c5c, v30
	v_fmac_f32_e32 v5, 0x3f7c1c5c, v31
	;; [unrolled: 1-line block ×8, first 2 shown]
	v_add_f32_e32 v7, v38, v30
	v_add_f32_e32 v8, v39, v31
	v_fmac_f32_e32 v18, -0.5, v34
	v_fmac_f32_e32 v42, -0.5, v35
	v_fmac_f32_e32 v6, 0x3eaf1d44, v9
	v_fmac_f32_e32 v5, 0x3eaf1d44, v10
	v_sub_f32_e32 v7, v7, v9
	v_sub_f32_e32 v8, v8, v10
	v_add_f32_e32 v9, v40, v36
	v_add_f32_e32 v10, v41, v37
	v_fmac_f32_e32 v18, 0xbf708fb2, v32
	v_fmac_f32_e32 v42, 0xbf708fb2, v33
	v_fmac_f32_e32 v3, -0.5, v9
	v_fmac_f32_e32 v4, -0.5, v10
	v_sub_f32_e32 v1, v18, v5
	v_add_f32_e32 v2, v6, v42
	v_fmac_f32_e32 v3, 0xbf5db3d7, v8
	v_fmac_f32_e32 v4, 0x3f5db3d7, v7
	v_fma_f32 v5, 2.0, v5, v1
	v_fma_f32 v6, -2.0, v6, v2
	ds_write2_b64 v21, v[1:2], v[3:4] offset0:42 offset1:63
	v_mul_f32_e32 v2, 0x3f5db3d7, v7
	v_mul_f32_e32 v1, 0x3f5db3d7, v8
	v_fma_f32 v1, 2.0, v1, v3
	v_fma_f32 v2, -2.0, v2, v4
	s_movk_i32 s6, 0xfac0
	ds_write2_b64 v21, v[1:2], v[5:6] offset0:126 offset1:147
	ds_write_b64 v21, v[16:17] offset:1344
	v_mad_i32_i24 v1, v28, s6, v20
	v_add_u32_e32 v29, v1, v24
	v_add_u32_e32 v33, 0x17a0, v1
	;; [unrolled: 1-line block ×5, first 2 shown]
	s_waitcnt lgkmcnt(0)
	s_barrier
	ds_read_b32 v31, v30 offset:4
	ds_read_b64 v[18:19], v30
	ds_read_b32 v32, v30
	ds_read_b64 v[20:21], v29 offset:4032
	ds_read2_b64 v[9:12], v2 offset0:2 offset1:254
	ds_read2_b64 v[5:8], v3 offset0:2 offset1:254
	ds_read2_b64 v[1:4], v29 offset1:252
	s_movk_i32 s6, 0x7e
	v_cmp_gt_u32_e64 s[6:7], s6, v0
                                        ; implicit-def: $vgpr23
	s_and_saveexec_b64 s[10:11], s[6:7]
	s_cbranch_execz .LBB0_8
; %bb.7:
	v_lshl_add_u32 v16, v22, 3, v33
	v_add_u32_e32 v16, 0x400, v16
	ds_read2_b32 v[16:17], v16 offset0:248 offset1:249
	ds_read_b64 v[22:23], v29 offset:17136
.LBB0_8:
	s_or_b64 exec, exec, s[10:11]
	v_mul_lo_u16_e32 v33, 29, v28
	v_lshrrev_b16_e32 v37, 8, v33
	v_mul_lo_u16_e32 v33, 9, v37
	v_sub_u16_e32 v38, v28, v33
	v_mov_b32_e32 v35, 3
	v_lshlrev_b32_sdwa v33, v35, v38 dst_sel:DWORD dst_unused:UNUSED_PAD src0_sel:DWORD src1_sel:BYTE_0
	global_load_dwordx2 v[33:34], v33, s[16:17]
	s_movk_i32 s14, 0xa8
	s_waitcnt vmcnt(0) lgkmcnt(2)
	v_mul_f32_e32 v36, v34, v10
	v_fmac_f32_e32 v36, v33, v9
	v_mul_f32_e32 v9, v34, v9
	v_fma_f32 v33, v33, v10, -v9
	v_mul_lo_u16_e32 v9, 29, v14
	v_lshrrev_b16_e32 v39, 8, v9
	v_mul_lo_u16_e32 v9, 9, v39
	v_sub_u16_e32 v9, v14, v9
	v_and_b32_e32 v40, 0xff, v9
	v_lshlrev_b32_e32 v9, 3, v40
	global_load_dwordx2 v[9:10], v9, s[16:17]
	s_waitcnt vmcnt(0)
	v_mul_f32_e32 v34, v10, v12
	v_mul_f32_e32 v10, v10, v11
	v_fmac_f32_e32 v34, v9, v11
	v_fma_f32 v12, v9, v12, -v10
	v_mul_lo_u16_e32 v9, 57, v27
	v_lshrrev_b16_e32 v41, 9, v9
	v_mul_lo_u16_e32 v9, 9, v41
	v_sub_u16_e32 v9, v27, v9
	v_and_b32_e32 v27, 0xff, v9
	v_lshlrev_b32_e32 v9, 3, v27
	global_load_dwordx2 v[9:10], v9, s[16:17]
	s_waitcnt lgkmcnt(0)
	v_sub_f32_e32 v11, v2, v33
	s_waitcnt vmcnt(0)
	v_mul_f32_e32 v42, v10, v6
	v_fmac_f32_e32 v42, v9, v5
	v_mul_f32_e32 v5, v10, v5
	v_fma_f32 v43, v9, v6, -v5
	v_mul_lo_u16_e32 v5, 57, v25
	v_lshrrev_b16_e32 v44, 9, v5
	v_mul_lo_u16_e32 v5, 9, v44
	v_sub_u16_e32 v5, v25, v5
	v_and_b32_e32 v45, 0xff, v5
	v_lshlrev_b32_e32 v5, 3, v45
	global_load_dwordx2 v[5:6], v5, s[16:17]
	v_sub_f32_e32 v10, v1, v36
	v_sub_f32_e32 v25, v3, v34
	v_fma_f32 v33, v3, 2.0, -v25
	v_sub_f32_e32 v36, v21, v43
	v_fma_f32 v21, v21, 2.0, -v36
	s_waitcnt vmcnt(0)
	v_mul_f32_e32 v46, v6, v8
	v_mul_f32_e32 v6, v6, v7
	v_fmac_f32_e32 v46, v5, v7
	v_fma_f32 v8, v5, v8, -v6
	v_mul_lo_u16_e32 v5, 57, v26
	v_lshrrev_b16_e32 v5, 9, v5
	v_mul_lo_u16_e32 v5, 9, v5
	v_sub_u16_e32 v9, v26, v5
	v_lshlrev_b32_sdwa v5, v35, v9 dst_sel:DWORD dst_unused:UNUSED_PAD src0_sel:DWORD src1_sel:BYTE_0
	global_load_dwordx2 v[5:6], v5, s[16:17]
	v_sub_f32_e32 v26, v4, v12
	v_mad_legacy_u16 v12, v37, 18, v38
	v_mul_u32_u24_sdwa v12, v12, s14 dst_sel:DWORD dst_unused:UNUSED_PAD src0_sel:BYTE_0 src1_sel:DWORD
	v_add3_u32 v12, 0, v12, v24
	s_waitcnt vmcnt(0)
	s_barrier
	v_fma_f32 v34, v4, 2.0, -v26
	v_sub_f32_e32 v35, v20, v42
	v_fma_f32 v20, v20, 2.0, -v35
	v_sub_f32_e32 v7, v18, v46
	v_sub_f32_e32 v8, v19, v8
	v_mul_f32_e32 v47, v23, v6
	v_mul_f32_e32 v6, v22, v6
	v_fmac_f32_e32 v47, v22, v5
	v_fma_f32 v5, v23, v5, -v6
	v_fma_f32 v22, v1, 2.0, -v10
	v_fma_f32 v23, v2, 2.0, -v11
	ds_write2_b64 v12, v[22:23], v[10:11] offset1:189
	v_mad_u32_u24 v10, v39, 18, v40
	v_mul_u32_u24_e32 v10, 0xa8, v10
	v_add3_u32 v10, 0, v10, v24
	ds_write2_b64 v10, v[33:34], v[25:26] offset1:189
	v_mad_u32_u24 v10, v41, 18, v27
	v_mul_u32_u24_e32 v10, 0xa8, v10
	v_add3_u32 v10, 0, v10, v24
	ds_write2_b64 v10, v[20:21], v[35:36] offset1:189
	v_mad_u32_u24 v10, v44, 18, v45
	v_sub_f32_e32 v3, v16, v47
	v_sub_f32_e32 v4, v17, v5
	v_mul_u32_u24_e32 v10, 0xa8, v10
	v_fma_f32 v1, v32, 2.0, -v7
	v_fma_f32 v2, v31, 2.0, -v8
	;; [unrolled: 1-line block ×4, first 2 shown]
	v_add3_u32 v10, 0, v10, v24
	ds_write2_b64 v10, v[1:2], v[7:8] offset1:189
	s_and_saveexec_b64 s[10:11], s[6:7]
	s_cbranch_execz .LBB0_10
; %bb.9:
	v_mul_u32_u24_sdwa v9, v9, s14 dst_sel:DWORD dst_unused:UNUSED_PAD src0_sel:BYTE_0 src1_sel:DWORD
	v_add3_u32 v9, 0, v9, v24
	v_add_u32_e32 v9, 0x3a00, v9
	ds_write2_b64 v9, v[5:6], v[3:4] offset0:34 offset1:223
.LBB0_10:
	s_or_b64 exec, exec, s[10:11]
	s_waitcnt lgkmcnt(0)
	s_barrier
	ds_read_b64 v[9:10], v29
	ds_read_b64 v[24:25], v29 offset:3024
	ds_read_b64 v[22:23], v29 offset:9072
	;; [unrolled: 1-line block ×3, first 2 shown]
	ds_read_b64 v[26:27], v30
	ds_read_b64 v[18:19], v29 offset:15120
                                        ; implicit-def: $vgpr12
                                        ; implicit-def: $vgpr17
	s_and_saveexec_b64 s[10:11], s[6:7]
	s_cbranch_execz .LBB0_12
; %bb.11:
	v_add_u32_e32 v1, 0x7e0, v29
	ds_read_b64 v[7:8], v29 offset:5040
	ds_read_b64 v[5:6], v29 offset:8064
	;; [unrolled: 1-line block ×4, first 2 shown]
	ds_read_b64 v[1:2], v1
	ds_read_b64 v[11:12], v29 offset:17136
.LBB0_12:
	s_or_b64 exec, exec, s[10:11]
	v_and_b32_e32 v28, 0xffff, v28
	v_mul_u32_u24_e32 v29, 5, v28
	v_lshlrev_b32_e32 v39, 3, v29
	global_load_dwordx2 v[37:38], v39, s[16:17] offset:104
	global_load_dwordx4 v[29:32], v39, s[16:17] offset:88
	global_load_dwordx4 v[33:36], v39, s[16:17] offset:72
	s_load_dwordx2 s[4:5], s[4:5], 0x8
	s_mov_b32 s11, 0x20000
	s_mov_b32 s10, -2
	s_movk_i32 s6, 0x5a
	s_waitcnt vmcnt(2) lgkmcnt(0)
	v_mul_f32_e32 v41, v38, v19
	v_fmac_f32_e32 v41, v37, v18
	s_waitcnt vmcnt(0)
	v_mul_f32_e32 v39, v34, v25
	v_mul_f32_e32 v18, v38, v18
	v_fmac_f32_e32 v39, v33, v24
	v_mul_f32_e32 v24, v34, v24
	v_mul_f32_e32 v34, v36, v27
	v_fma_f32 v37, v37, v19, -v18
	v_mul_lo_u16_e32 v18, 15, v14
	v_fma_f32 v33, v33, v25, -v24
	v_fmac_f32_e32 v34, v35, v26
	v_mul_f32_e32 v24, v36, v26
	v_lshrrev_b16_e32 v26, 8, v18
	v_mul_lo_u16_e32 v18, 18, v26
	v_fma_f32 v27, v35, v27, -v24
	v_mul_f32_e32 v35, v30, v23
	v_sub_u16_e32 v18, v14, v18
	v_fmac_f32_e32 v35, v29, v22
	v_mul_f32_e32 v22, v30, v22
	v_and_b32_e32 v30, 0xff, v18
	v_mul_f32_e32 v36, v32, v21
	v_mul_u32_u24_e32 v18, 5, v30
	v_fmac_f32_e32 v36, v31, v20
	v_mul_f32_e32 v20, v32, v20
	v_lshlrev_b32_e32 v38, 3, v18
	v_fma_f32 v29, v29, v23, -v22
	v_fma_f32 v40, v31, v21, -v20
	global_load_dwordx2 v[31:32], v38, s[16:17] offset:104
	global_load_dwordx4 v[18:21], v38, s[16:17] offset:88
	global_load_dwordx4 v[22:25], v38, s[16:17] offset:72
	s_waitcnt vmcnt(0)
	v_mul_f32_e32 v38, v8, v23
	v_fmac_f32_e32 v38, v7, v22
	v_mul_f32_e32 v7, v7, v23
	v_fma_f32 v7, v8, v22, -v7
	v_mul_f32_e32 v22, v6, v25
	v_fmac_f32_e32 v22, v5, v24
	v_mul_f32_e32 v5, v5, v25
	v_fma_f32 v5, v6, v24, -v5
	v_mul_f32_e32 v6, v4, v19
	v_fmac_f32_e32 v6, v3, v18
	v_mul_f32_e32 v3, v3, v19
	v_mul_f32_e32 v8, v16, v21
	;; [unrolled: 1-line block ×3, first 2 shown]
	v_fma_f32 v3, v4, v18, -v3
	v_mul_f32_e32 v4, v17, v21
	v_fma_f32 v18, v17, v20, -v8
	v_fmac_f32_e32 v19, v11, v31
	v_mul_f32_e32 v8, v11, v32
	v_add_f32_e32 v11, v34, v36
	v_fmac_f32_e32 v4, v16, v20
	v_fma_f32 v20, v12, v31, -v8
	v_add_f32_e32 v8, v9, v34
	v_fma_f32 v9, -0.5, v11, v9
	v_sub_f32_e32 v11, v27, v40
	v_mov_b32_e32 v12, v9
	v_fmac_f32_e32 v12, 0xbf5db3d7, v11
	v_fmac_f32_e32 v9, 0x3f5db3d7, v11
	v_add_f32_e32 v11, v10, v27
	v_add_f32_e32 v17, v11, v40
	v_add_f32_e32 v11, v27, v40
	v_fmac_f32_e32 v10, -0.5, v11
	v_sub_f32_e32 v11, v34, v36
	v_mov_b32_e32 v21, v10
	v_add_f32_e32 v16, v35, v41
	v_fmac_f32_e32 v21, 0x3f5db3d7, v11
	v_fmac_f32_e32 v10, 0xbf5db3d7, v11
	v_add_f32_e32 v11, v39, v35
	v_fmac_f32_e32 v39, -0.5, v16
	v_sub_f32_e32 v16, v29, v37
	v_mov_b32_e32 v23, v39
	v_fmac_f32_e32 v23, 0xbf5db3d7, v16
	v_fmac_f32_e32 v39, 0x3f5db3d7, v16
	v_add_f32_e32 v16, v33, v29
	v_add_f32_e32 v24, v16, v37
	;; [unrolled: 1-line block ×3, first 2 shown]
	v_fmac_f32_e32 v33, -0.5, v16
	v_sub_f32_e32 v16, v35, v41
	v_mov_b32_e32 v25, v33
	v_fmac_f32_e32 v25, 0x3f5db3d7, v16
	v_fmac_f32_e32 v33, 0xbf5db3d7, v16
	v_mul_f32_e32 v16, 0xbf5db3d7, v25
	v_mul_f32_e32 v27, 0xbf5db3d7, v33
	v_mul_f32_e32 v25, 0.5, v25
	v_add_f32_e32 v8, v8, v36
	v_add_f32_e32 v11, v11, v41
	v_fmac_f32_e32 v16, 0.5, v23
	v_fmac_f32_e32 v27, -0.5, v39
	v_fmac_f32_e32 v25, 0x3f5db3d7, v23
	v_mul_f32_e32 v23, -0.5, v33
	v_add_f32_e32 v31, v8, v11
	v_add_f32_e32 v36, v9, v27
	;; [unrolled: 1-line block ×4, first 2 shown]
	v_fmac_f32_e32 v23, 0x3f5db3d7, v39
	v_sub_f32_e32 v8, v8, v11
	v_sub_f32_e32 v11, v9, v27
	;; [unrolled: 1-line block ×4, first 2 shown]
	v_add_f32_e32 v21, v22, v4
	v_add_f32_e32 v32, v12, v16
	;; [unrolled: 1-line block ×3, first 2 shown]
	v_sub_f32_e32 v16, v12, v16
	v_sub_f32_e32 v12, v10, v23
	v_add_f32_e32 v10, v1, v22
	v_fmac_f32_e32 v1, -0.5, v21
	v_sub_f32_e32 v21, v5, v18
	v_mov_b32_e32 v24, v1
	v_fmac_f32_e32 v24, 0xbf5db3d7, v21
	v_fmac_f32_e32 v1, 0x3f5db3d7, v21
	v_add_f32_e32 v21, v2, v5
	v_add_f32_e32 v5, v5, v18
	v_fmac_f32_e32 v2, -0.5, v5
	v_add_f32_e32 v10, v10, v4
	v_add_f32_e32 v29, v21, v18
	v_sub_f32_e32 v4, v22, v4
	v_mov_b32_e32 v5, v2
	v_add_f32_e32 v18, v6, v19
	v_fmac_f32_e32 v5, 0x3f5db3d7, v4
	v_fmac_f32_e32 v2, 0xbf5db3d7, v4
	v_add_f32_e32 v4, v38, v6
	v_fmac_f32_e32 v38, -0.5, v18
	v_sub_f32_e32 v18, v3, v20
	v_mov_b32_e32 v22, v38
	v_fmac_f32_e32 v22, 0xbf5db3d7, v18
	v_fmac_f32_e32 v38, 0x3f5db3d7, v18
	v_add_f32_e32 v18, v7, v3
	v_add_f32_e32 v3, v3, v20
	v_fmac_f32_e32 v7, -0.5, v3
	v_sub_f32_e32 v3, v6, v19
	v_mov_b32_e32 v6, v7
	v_fmac_f32_e32 v6, 0x3f5db3d7, v3
	v_fmac_f32_e32 v7, 0xbf5db3d7, v3
	v_mul_f32_e32 v3, 0xbf5db3d7, v6
	v_fmac_f32_e32 v3, 0.5, v22
	v_add_f32_e32 v4, v4, v19
	v_add_f32_e32 v19, v24, v3
	v_sub_f32_e32 v25, v24, v3
	v_mul_lo_u32 v3, v15, v28
	v_mul_f32_e32 v27, 0xbf5db3d7, v7
	v_fmac_f32_e32 v27, -0.5, v38
	v_mul_f32_e32 v7, -0.5, v7
	v_mov_b32_e32 v41, 3
	v_add_f32_e32 v33, v18, v20
	v_add_f32_e32 v21, v1, v27
	v_mul_f32_e32 v6, 0.5, v6
	v_fmac_f32_e32 v7, 0x3f5db3d7, v38
	v_sub_f32_e32 v27, v1, v27
	v_lshlrev_b32_sdwa v1, v41, v3 dst_sel:DWORD dst_unused:UNUSED_PAD src0_sel:DWORD src1_sel:BYTE_0
	v_lshlrev_b32_sdwa v3, v41, v3 dst_sel:DWORD dst_unused:UNUSED_PAD src0_sel:DWORD src1_sel:BYTE_1
	v_add_f32_e32 v18, v10, v4
	v_add_f32_e32 v37, v29, v33
	v_fmac_f32_e32 v6, 0x3f5db3d7, v22
	v_add_f32_e32 v22, v2, v7
	v_sub_f32_e32 v23, v10, v4
	v_sub_f32_e32 v24, v29, v33
	;; [unrolled: 1-line block ×3, first 2 shown]
	global_load_dwordx2 v[1:2], v1, s[4:5]
	v_add_f32_e32 v20, v5, v6
	global_load_dwordx2 v[3:4], v3, s[4:5] offset:2048
	v_sub_f32_e32 v33, v5, v6
	s_waitcnt vmcnt(0)
	v_mul_f32_e32 v5, v2, v4
	v_mul_f32_e32 v4, v1, v4
	v_fmac_f32_e32 v4, v2, v3
	v_fma_f32 v5, v1, v3, -v5
	v_mul_f32_e32 v1, v34, v4
	v_fmac_f32_e32 v1, v31, v5
	v_mul_f32_e32 v2, v31, v4
	v_add_u32_e32 v31, 18, v28
	v_fma_f32 v2, v34, v5, -v2
	v_mul_lo_u32 v5, v15, v31
	v_lshlrev_b32_sdwa v3, v41, v5 dst_sel:DWORD dst_unused:UNUSED_PAD src0_sel:DWORD src1_sel:BYTE_0
	v_lshlrev_b32_sdwa v5, v41, v5 dst_sel:DWORD dst_unused:UNUSED_PAD src0_sel:DWORD src1_sel:BYTE_1
	global_load_dwordx2 v[3:4], v3, s[4:5]
	s_nop 0
	global_load_dwordx2 v[5:6], v5, s[4:5] offset:2048
	s_waitcnt vmcnt(0)
	v_mul_f32_e32 v7, v4, v6
	v_mul_f32_e32 v6, v3, v6
	v_fmac_f32_e32 v6, v4, v5
	v_fma_f32 v7, v3, v5, -v7
	v_mul_f32_e32 v3, v35, v6
	v_fmac_f32_e32 v3, v32, v7
	v_mul_f32_e32 v4, v32, v6
	v_add_u32_e32 v32, 36, v28
	v_fma_f32 v4, v35, v7, -v4
	v_mul_lo_u32 v7, v15, v32
	v_lshlrev_b32_sdwa v5, v41, v7 dst_sel:DWORD dst_unused:UNUSED_PAD src0_sel:DWORD src1_sel:BYTE_0
	v_lshlrev_b32_sdwa v7, v41, v7 dst_sel:DWORD dst_unused:UNUSED_PAD src0_sel:DWORD src1_sel:BYTE_1
	global_load_dwordx2 v[5:6], v5, s[4:5]
	s_nop 0
	global_load_dwordx2 v[34:35], v7, s[4:5] offset:2048
	s_waitcnt vmcnt(0)
	v_mul_f32_e32 v10, v5, v35
	v_mul_f32_e32 v7, v6, v35
	v_fmac_f32_e32 v10, v6, v34
	v_fma_f32 v7, v5, v34, -v7
	v_mul_f32_e32 v5, v39, v10
	v_mul_f32_e32 v6, v36, v10
	v_add_u32_e32 v34, 54, v28
	v_fmac_f32_e32 v5, v36, v7
	v_fma_f32 v6, v39, v7, -v6
	v_mul_lo_u32 v7, v15, v34
	v_lshlrev_b32_sdwa v10, v41, v7 dst_sel:DWORD dst_unused:UNUSED_PAD src0_sel:DWORD src1_sel:BYTE_0
	v_lshlrev_b32_sdwa v7, v41, v7 dst_sel:DWORD dst_unused:UNUSED_PAD src0_sel:DWORD src1_sel:BYTE_1
	global_load_dwordx2 v[35:36], v10, s[4:5]
	global_load_dwordx2 v[38:39], v7, s[4:5] offset:2048
	s_waitcnt vmcnt(0)
	v_mul_f32_e32 v7, v36, v39
	v_fma_f32 v10, v35, v38, -v7
	v_mul_f32_e32 v35, v35, v39
	v_fmac_f32_e32 v35, v36, v38
	v_mul_f32_e32 v7, v9, v35
	v_fmac_f32_e32 v7, v8, v10
	v_mul_f32_e32 v8, v8, v35
	v_add_u32_e32 v35, 0x48, v28
	v_mul_lo_u32 v36, v15, v35
	v_fma_f32 v8, v9, v10, -v8
	v_lshlrev_b32_sdwa v9, v41, v36 dst_sel:DWORD dst_unused:UNUSED_PAD src0_sel:DWORD src1_sel:BYTE_0
	v_lshlrev_b32_sdwa v36, v41, v36 dst_sel:DWORD dst_unused:UNUSED_PAD src0_sel:DWORD src1_sel:BYTE_1
	global_load_dwordx2 v[9:10], v9, s[4:5]
	s_nop 0
	global_load_dwordx2 v[38:39], v36, s[4:5] offset:2048
	s_waitcnt vmcnt(0)
	v_mul_f32_e32 v36, v10, v39
	v_mul_f32_e32 v39, v9, v39
	v_fmac_f32_e32 v39, v10, v38
	v_fma_f32 v36, v9, v38, -v36
	v_mul_f32_e32 v9, v17, v39
	v_mul_f32_e32 v10, v16, v39
	v_fmac_f32_e32 v9, v16, v36
	v_fma_f32 v10, v17, v36, -v10
	v_add_u32_e32 v36, 0x5a, v28
	v_mul_lo_u32 v38, v15, v36
	v_lshlrev_b32_sdwa v16, v41, v38 dst_sel:DWORD dst_unused:UNUSED_PAD src0_sel:DWORD src1_sel:BYTE_0
	v_lshlrev_b32_sdwa v38, v41, v38 dst_sel:DWORD dst_unused:UNUSED_PAD src0_sel:DWORD src1_sel:BYTE_1
	global_load_dwordx2 v[16:17], v16, s[4:5]
	s_nop 0
	global_load_dwordx2 v[38:39], v38, s[4:5] offset:2048
	s_waitcnt vmcnt(0)
	v_mul_f32_e32 v40, v17, v39
	v_mul_f32_e32 v39, v16, v39
	v_fma_f32 v40, v16, v38, -v40
	v_fmac_f32_e32 v39, v17, v38
	v_mul_lo_u32 v38, v15, v30
	v_mul_f32_e32 v16, v12, v39
	v_fmac_f32_e32 v16, v11, v40
	v_mul_f32_e32 v11, v11, v39
	v_fma_f32 v17, v12, v40, -v11
	v_lshlrev_b32_sdwa v11, v41, v38 dst_sel:DWORD dst_unused:UNUSED_PAD src0_sel:DWORD src1_sel:BYTE_0
	v_lshlrev_b32_sdwa v38, v41, v38 dst_sel:DWORD dst_unused:UNUSED_PAD src0_sel:DWORD src1_sel:BYTE_1
	global_load_dwordx2 v[11:12], v11, s[4:5]
	s_nop 0
	global_load_dwordx2 v[38:39], v38, s[4:5] offset:2048
	s_waitcnt vmcnt(0)
	v_mul_f32_e32 v40, v12, v39
	v_mul_f32_e32 v39, v11, v39
	v_fmac_f32_e32 v39, v12, v38
	v_fma_f32 v40, v11, v38, -v40
	v_mul_f32_e32 v11, v37, v39
	v_fmac_f32_e32 v11, v18, v40
	v_mul_f32_e32 v12, v18, v39
	v_add_u32_e32 v18, 18, v30
	v_mul_lo_u32 v18, v15, v18
	v_fma_f32 v12, v37, v40, -v12
	v_lshlrev_b32_sdwa v37, v41, v18 dst_sel:DWORD dst_unused:UNUSED_PAD src0_sel:DWORD src1_sel:BYTE_0
	v_lshlrev_b32_sdwa v18, v41, v18 dst_sel:DWORD dst_unused:UNUSED_PAD src0_sel:DWORD src1_sel:BYTE_1
	global_load_dwordx2 v[37:38], v37, s[4:5]
	s_nop 0
	global_load_dwordx2 v[39:40], v18, s[4:5] offset:2048
	s_waitcnt vmcnt(0)
	v_mul_f32_e32 v18, v38, v40
	v_fma_f32 v42, v37, v39, -v18
	v_mul_f32_e32 v37, v37, v40
	v_fmac_f32_e32 v37, v38, v39
	v_mul_f32_e32 v18, v20, v37
	v_fmac_f32_e32 v18, v19, v42
	v_mul_f32_e32 v19, v19, v37
	v_fma_f32 v19, v20, v42, -v19
	v_add_u32_e32 v20, 36, v30
	v_mul_lo_u32 v20, v15, v20
	v_lshlrev_b32_sdwa v37, v41, v20 dst_sel:DWORD dst_unused:UNUSED_PAD src0_sel:DWORD src1_sel:BYTE_0
	v_lshlrev_b32_sdwa v20, v41, v20 dst_sel:DWORD dst_unused:UNUSED_PAD src0_sel:DWORD src1_sel:BYTE_1
	global_load_dwordx2 v[37:38], v37, s[4:5]
	s_nop 0
	global_load_dwordx2 v[39:40], v20, s[4:5] offset:2048
	s_waitcnt vmcnt(0)
	v_mul_f32_e32 v20, v38, v40
	v_fma_f32 v42, v37, v39, -v20
	v_mul_f32_e32 v37, v37, v40
	v_fmac_f32_e32 v37, v38, v39
	v_mul_f32_e32 v20, v22, v37
	v_fmac_f32_e32 v20, v21, v42
	v_mul_f32_e32 v21, v21, v37
	v_fma_f32 v21, v22, v42, -v21
	v_add_u32_e32 v22, 54, v30
	v_mul_lo_u32 v22, v15, v22
	;; [unrolled: 16-line block ×3, first 2 shown]
	v_add_u32_e32 v30, 0x5a, v30
	v_mul_lo_u32 v15, v15, v30
	v_lshlrev_b32_sdwa v37, v41, v24 dst_sel:DWORD dst_unused:UNUSED_PAD src0_sel:DWORD src1_sel:BYTE_0
	v_lshlrev_b32_sdwa v24, v41, v24 dst_sel:DWORD dst_unused:UNUSED_PAD src0_sel:DWORD src1_sel:BYTE_1
	global_load_dwordx2 v[37:38], v37, s[4:5]
	v_lshlrev_b32_sdwa v30, v41, v15 dst_sel:DWORD dst_unused:UNUSED_PAD src0_sel:DWORD src1_sel:BYTE_0
	global_load_dwordx2 v[39:40], v24, s[4:5] offset:2048
	v_lshlrev_b32_sdwa v15, v41, v15 dst_sel:DWORD dst_unused:UNUSED_PAD src0_sel:DWORD src1_sel:BYTE_1
	s_waitcnt vmcnt(0)
	v_mul_f32_e32 v24, v38, v40
	v_fma_f32 v42, v37, v39, -v24
	v_mul_f32_e32 v37, v37, v40
	v_fmac_f32_e32 v37, v38, v39
	v_mul_f32_e32 v24, v33, v37
	v_fmac_f32_e32 v24, v25, v42
	v_mul_f32_e32 v25, v25, v37
	global_load_dwordx2 v[37:38], v30, s[4:5]
	global_load_dwordx2 v[39:40], v15, s[4:5] offset:2048
	s_movk_i32 s4, 0x7d
	v_cmp_lt_u32_e64 s[4:5], s4, v0
	s_or_b64 s[0:1], s[4:5], s[0:1]
	v_fma_f32 v25, v33, v42, -v25
	s_waitcnt vmcnt(0)
	v_mul_f32_e32 v30, v37, v40
	v_mul_f32_e32 v15, v38, v40
	v_fmac_f32_e32 v30, v38, v39
	v_fma_f32 v15, v37, v39, -v15
	v_mul_f32_e32 v37, v29, v30
	v_fmac_f32_e32 v37, v27, v15
	v_mul_f32_e32 v27, v27, v30
	v_fma_f32 v38, v29, v15, -v27
	v_mul_lo_u32 v15, s12, v28
	v_add_lshl_u32 v15, v13, v15, 3
	v_cndmask_b32_e64 v15, -1, v15, s[2:3]
	buffer_store_dwordx2 v[1:2], v15, s[8:11], s13 offen
	v_mul_lo_u32 v1, s12, v31
	v_add_lshl_u32 v1, v13, v1, 3
	v_cndmask_b32_e64 v1, -1, v1, s[2:3]
	buffer_store_dwordx2 v[3:4], v1, s[8:11], s13 offen
	v_mul_lo_u32 v1, s12, v32
	v_cndmask_b32_e64 v3, 0, 1, vcc
	v_add_lshl_u32 v1, v13, v1, 3
	v_cndmask_b32_e64 v1, -1, v1, s[2:3]
	buffer_store_dwordx2 v[5:6], v1, s[8:11], s13 offen
	v_mul_lo_u32 v1, s12, v34
	v_add_lshl_u32 v1, v13, v1, 3
	v_cndmask_b32_e64 v1, -1, v1, s[2:3]
	buffer_store_dwordx2 v[7:8], v1, s[8:11], s13 offen
	v_mul_lo_u32 v1, s12, v35
	;; [unrolled: 4-line block ×3, first 2 shown]
	v_add_lshl_u32 v1, v13, v1, 3
	v_cndmask_b32_e64 v1, -1, v1, s[2:3]
	buffer_store_dwordx2 v[16:17], v1, s[8:11], s13 offen
	v_mad_u32_u24 v1, v26, s6, v14
	s_movk_i32 s2, 0x7e
	v_mul_lo_u32 v2, s12, v1
	v_cmp_gt_u32_e64 s[2:3], s2, v0
	v_cndmask_b32_e64 v0, 0, 1, s[2:3]
	v_cndmask_b32_e64 v0, v3, v0, s[0:1]
	v_and_b32_e32 v0, 1, v0
	v_cmp_eq_u32_e32 vcc, 1, v0
	v_add_lshl_u32 v0, v13, v2, 3
	v_cndmask_b32_e32 v0, -1, v0, vcc
	buffer_store_dwordx2 v[11:12], v0, s[8:11], s13 offen
	v_add_u32_e32 v0, 18, v1
	v_mul_lo_u32 v0, s12, v0
	v_add_lshl_u32 v0, v13, v0, 3
	v_cndmask_b32_e32 v0, -1, v0, vcc
	buffer_store_dwordx2 v[18:19], v0, s[8:11], s13 offen
	v_add_u32_e32 v0, 36, v1
	v_mul_lo_u32 v0, s12, v0
	;; [unrolled: 5-line block ×5, first 2 shown]
	v_add_lshl_u32 v0, v13, v0, 3
	v_cndmask_b32_e32 v0, -1, v0, vcc
	buffer_store_dwordx2 v[37:38], v0, s[8:11], s13 offen
	s_endpgm
	.section	.rodata,"a",@progbits
	.p2align	6, 0x0
	.amdhsa_kernel fft_rtc_back_len108_factors_9_2_6_wgs_252_tpt_12_dim3_sp_ip_CI_sbcc_twdbase8_2step_dirReg_intrinsicReadWrite
		.amdhsa_group_segment_fixed_size 0
		.amdhsa_private_segment_fixed_size 0
		.amdhsa_kernarg_size 88
		.amdhsa_user_sgpr_count 6
		.amdhsa_user_sgpr_private_segment_buffer 1
		.amdhsa_user_sgpr_dispatch_ptr 0
		.amdhsa_user_sgpr_queue_ptr 0
		.amdhsa_user_sgpr_kernarg_segment_ptr 1
		.amdhsa_user_sgpr_dispatch_id 0
		.amdhsa_user_sgpr_flat_scratch_init 0
		.amdhsa_user_sgpr_private_segment_size 0
		.amdhsa_uses_dynamic_stack 0
		.amdhsa_system_sgpr_private_segment_wavefront_offset 0
		.amdhsa_system_sgpr_workgroup_id_x 1
		.amdhsa_system_sgpr_workgroup_id_y 0
		.amdhsa_system_sgpr_workgroup_id_z 0
		.amdhsa_system_sgpr_workgroup_info 0
		.amdhsa_system_vgpr_workitem_id 0
		.amdhsa_next_free_vgpr 48
		.amdhsa_next_free_sgpr 28
		.amdhsa_reserve_vcc 1
		.amdhsa_reserve_flat_scratch 0
		.amdhsa_float_round_mode_32 0
		.amdhsa_float_round_mode_16_64 0
		.amdhsa_float_denorm_mode_32 3
		.amdhsa_float_denorm_mode_16_64 3
		.amdhsa_dx10_clamp 1
		.amdhsa_ieee_mode 1
		.amdhsa_fp16_overflow 0
		.amdhsa_exception_fp_ieee_invalid_op 0
		.amdhsa_exception_fp_denorm_src 0
		.amdhsa_exception_fp_ieee_div_zero 0
		.amdhsa_exception_fp_ieee_overflow 0
		.amdhsa_exception_fp_ieee_underflow 0
		.amdhsa_exception_fp_ieee_inexact 0
		.amdhsa_exception_int_div_zero 0
	.end_amdhsa_kernel
	.text
.Lfunc_end0:
	.size	fft_rtc_back_len108_factors_9_2_6_wgs_252_tpt_12_dim3_sp_ip_CI_sbcc_twdbase8_2step_dirReg_intrinsicReadWrite, .Lfunc_end0-fft_rtc_back_len108_factors_9_2_6_wgs_252_tpt_12_dim3_sp_ip_CI_sbcc_twdbase8_2step_dirReg_intrinsicReadWrite
                                        ; -- End function
	.section	.AMDGPU.csdata,"",@progbits
; Kernel info:
; codeLenInByte = 5252
; NumSgprs: 32
; NumVgprs: 48
; ScratchSize: 0
; MemoryBound: 0
; FloatMode: 240
; IeeeMode: 1
; LDSByteSize: 0 bytes/workgroup (compile time only)
; SGPRBlocks: 3
; VGPRBlocks: 11
; NumSGPRsForWavesPerEU: 32
; NumVGPRsForWavesPerEU: 48
; Occupancy: 5
; WaveLimiterHint : 0
; COMPUTE_PGM_RSRC2:SCRATCH_EN: 0
; COMPUTE_PGM_RSRC2:USER_SGPR: 6
; COMPUTE_PGM_RSRC2:TRAP_HANDLER: 0
; COMPUTE_PGM_RSRC2:TGID_X_EN: 1
; COMPUTE_PGM_RSRC2:TGID_Y_EN: 0
; COMPUTE_PGM_RSRC2:TGID_Z_EN: 0
; COMPUTE_PGM_RSRC2:TIDIG_COMP_CNT: 0
	.type	__hip_cuid_c57e07798dbb6b5b,@object ; @__hip_cuid_c57e07798dbb6b5b
	.section	.bss,"aw",@nobits
	.globl	__hip_cuid_c57e07798dbb6b5b
__hip_cuid_c57e07798dbb6b5b:
	.byte	0                               ; 0x0
	.size	__hip_cuid_c57e07798dbb6b5b, 1

	.ident	"AMD clang version 19.0.0git (https://github.com/RadeonOpenCompute/llvm-project roc-6.4.0 25133 c7fe45cf4b819c5991fe208aaa96edf142730f1d)"
	.section	".note.GNU-stack","",@progbits
	.addrsig
	.addrsig_sym __hip_cuid_c57e07798dbb6b5b
	.amdgpu_metadata
---
amdhsa.kernels:
  - .args:
      - .actual_access:  read_only
        .address_space:  global
        .offset:         0
        .size:           8
        .value_kind:     global_buffer
      - .address_space:  global
        .offset:         8
        .size:           8
        .value_kind:     global_buffer
      - .actual_access:  read_only
        .address_space:  global
        .offset:         16
        .size:           8
        .value_kind:     global_buffer
      - .actual_access:  read_only
        .address_space:  global
        .offset:         24
        .size:           8
        .value_kind:     global_buffer
      - .offset:         32
        .size:           8
        .value_kind:     by_value
      - .actual_access:  read_only
        .address_space:  global
        .offset:         40
        .size:           8
        .value_kind:     global_buffer
      - .actual_access:  read_only
        .address_space:  global
        .offset:         48
        .size:           8
        .value_kind:     global_buffer
      - .offset:         56
        .size:           4
        .value_kind:     by_value
      - .actual_access:  read_only
        .address_space:  global
        .offset:         64
        .size:           8
        .value_kind:     global_buffer
      - .actual_access:  read_only
        .address_space:  global
        .offset:         72
        .size:           8
        .value_kind:     global_buffer
      - .address_space:  global
        .offset:         80
        .size:           8
        .value_kind:     global_buffer
    .group_segment_fixed_size: 0
    .kernarg_segment_align: 8
    .kernarg_segment_size: 88
    .language:       OpenCL C
    .language_version:
      - 2
      - 0
    .max_flat_workgroup_size: 252
    .name:           fft_rtc_back_len108_factors_9_2_6_wgs_252_tpt_12_dim3_sp_ip_CI_sbcc_twdbase8_2step_dirReg_intrinsicReadWrite
    .private_segment_fixed_size: 0
    .sgpr_count:     32
    .sgpr_spill_count: 0
    .symbol:         fft_rtc_back_len108_factors_9_2_6_wgs_252_tpt_12_dim3_sp_ip_CI_sbcc_twdbase8_2step_dirReg_intrinsicReadWrite.kd
    .uniform_work_group_size: 1
    .uses_dynamic_stack: false
    .vgpr_count:     48
    .vgpr_spill_count: 0
    .wavefront_size: 64
amdhsa.target:   amdgcn-amd-amdhsa--gfx906
amdhsa.version:
  - 1
  - 2
...

	.end_amdgpu_metadata
